;; amdgpu-corpus repo=ROCm/rocFFT kind=compiled arch=gfx1030 opt=O3
	.text
	.amdgcn_target "amdgcn-amd-amdhsa--gfx1030"
	.amdhsa_code_object_version 6
	.protected	fft_rtc_fwd_len243_factors_3_3_3_3_3_wgs_243_tpt_81_half_ip_CI_sbcc_dirReg_intrinsicReadWrite ; -- Begin function fft_rtc_fwd_len243_factors_3_3_3_3_3_wgs_243_tpt_81_half_ip_CI_sbcc_dirReg_intrinsicReadWrite
	.globl	fft_rtc_fwd_len243_factors_3_3_3_3_3_wgs_243_tpt_81_half_ip_CI_sbcc_dirReg_intrinsicReadWrite
	.p2align	8
	.type	fft_rtc_fwd_len243_factors_3_3_3_3_3_wgs_243_tpt_81_half_ip_CI_sbcc_dirReg_intrinsicReadWrite,@function
fft_rtc_fwd_len243_factors_3_3_3_3_3_wgs_243_tpt_81_half_ip_CI_sbcc_dirReg_intrinsicReadWrite: ; @fft_rtc_fwd_len243_factors_3_3_3_3_3_wgs_243_tpt_81_half_ip_CI_sbcc_dirReg_intrinsicReadWrite
; %bb.0:
	s_load_dwordx4 s[12:15], s[4:5], 0x18
	s_mov_b64 s[20:21], 0
	s_waitcnt lgkmcnt(0)
	s_load_dwordx2 s[2:3], s[12:13], 0x8
	s_waitcnt lgkmcnt(0)
	s_add_u32 s0, s2, -1
	s_addc_u32 s1, s3, -1
	s_add_u32 s7, 0, 0x55500000
	s_addc_u32 s8, 0, 0x155
	s_mul_hi_u32 s10, s7, -3
	s_add_i32 s8, s8, 0x55555400
	s_sub_i32 s10, s10, s7
	s_mul_i32 s16, s8, -3
	s_mul_i32 s9, s7, -3
	s_add_i32 s10, s10, s16
	s_mul_hi_u32 s11, s7, s9
	s_mul_i32 s18, s7, s10
	s_mul_hi_u32 s16, s7, s10
	s_mul_hi_u32 s17, s8, s9
	s_mul_i32 s9, s8, s9
	s_add_u32 s11, s11, s18
	s_addc_u32 s16, 0, s16
	s_mul_hi_u32 s19, s8, s10
	s_add_u32 s9, s11, s9
	s_mul_i32 s10, s8, s10
	s_addc_u32 s9, s16, s17
	s_addc_u32 s11, s19, 0
	s_add_u32 s9, s9, s10
	v_add_co_u32 v1, s7, s7, s9
	s_addc_u32 s9, 0, s11
	s_cmp_lg_u32 s7, 0
	s_addc_u32 s7, s8, s9
	v_readfirstlane_b32 s8, v1
	s_mul_i32 s10, s0, s7
	s_mul_hi_u32 s9, s0, s7
	s_mul_hi_u32 s11, s1, s7
	s_mul_i32 s7, s1, s7
	s_mul_hi_u32 s16, s0, s8
	s_mul_hi_u32 s17, s1, s8
	s_mul_i32 s8, s1, s8
	s_add_u32 s10, s16, s10
	s_addc_u32 s9, 0, s9
	s_add_u32 s8, s10, s8
	s_addc_u32 s8, s9, s17
	s_addc_u32 s9, s11, 0
	s_add_u32 s8, s8, s7
	s_addc_u32 s9, 0, s9
	s_mul_i32 s10, s8, 3
	s_add_u32 s7, s8, 1
	v_sub_co_u32 v1, s0, s0, s10
	s_mul_hi_u32 s10, s8, 3
	s_addc_u32 s11, s9, 0
	s_mul_i32 s16, s9, 3
	v_sub_co_u32 v2, s17, v1, 3
	s_add_u32 s18, s8, 2
	s_addc_u32 s19, s9, 0
	s_add_i32 s10, s10, s16
	s_cmp_lg_u32 s0, 0
	v_readfirstlane_b32 s0, v2
	s_subb_u32 s1, s1, s10
	s_cmp_lg_u32 s17, 0
	s_subb_u32 s10, s1, 0
	s_cmp_gt_u32 s0, 2
	s_cselect_b32 s0, -1, 0
	s_cmp_eq_u32 s10, 0
	v_readfirstlane_b32 s10, v1
	s_cselect_b32 s0, s0, -1
	s_cmp_lg_u32 s0, 0
	s_cselect_b32 s0, s18, s7
	s_cselect_b32 s11, s19, s11
	s_cmp_gt_u32 s10, 2
	s_cselect_b32 s7, -1, 0
	s_cmp_eq_u32 s1, 0
	s_cselect_b32 s1, s7, -1
	s_mov_b32 s7, 0
	s_cmp_lg_u32 s1, 0
	s_cselect_b32 s0, s0, s8
	s_cselect_b32 s1, s11, s9
	s_add_u32 s16, s0, 1
	s_addc_u32 s17, s1, 0
	v_cmp_lt_u64_e64 s0, s[6:7], s[16:17]
	s_and_b32 vcc_lo, exec_lo, s0
	s_cbranch_vccnz .LBB0_2
; %bb.1:
	v_cvt_f32_u32_e32 v1, s16
	s_sub_i32 s1, 0, s16
	s_mov_b32 s21, s7
	v_rcp_iflag_f32_e32 v1, v1
	v_mul_f32_e32 v1, 0x4f7ffffe, v1
	v_cvt_u32_f32_e32 v1, v1
	v_readfirstlane_b32 s0, v1
	s_mul_i32 s1, s1, s0
	s_mul_hi_u32 s1, s0, s1
	s_add_i32 s0, s0, s1
	s_mul_hi_u32 s0, s6, s0
	s_mul_i32 s1, s0, s16
	s_add_i32 s8, s0, 1
	s_sub_i32 s1, s6, s1
	s_sub_i32 s9, s1, s16
	s_cmp_ge_u32 s1, s16
	s_cselect_b32 s0, s8, s0
	s_cselect_b32 s1, s9, s1
	s_add_i32 s8, s0, 1
	s_cmp_ge_u32 s1, s16
	s_cselect_b32 s20, s8, s0
.LBB0_2:
	s_load_dwordx4 s[8:11], s[14:15], 0x0
	s_clause 0x2
	s_load_dwordx2 s[18:19], s[4:5], 0x10
	s_load_dwordx2 s[0:1], s[4:5], 0x58
	;; [unrolled: 1-line block ×3, first 2 shown]
	s_waitcnt lgkmcnt(0)
	s_mul_i32 s9, s20, s17
	s_mul_hi_u32 s22, s20, s16
	s_mul_i32 s23, s20, s16
	s_add_i32 s22, s22, s9
	s_sub_u32 s33, s6, s23
	s_subb_u32 s9, 0, s22
	s_mul_hi_u32 s22, s33, 3
	s_mul_i32 s9, s9, 3
	s_mul_i32 s33, s33, 3
	s_add_i32 s9, s22, s9
	s_mul_i32 s22, s10, s9
	v_cmp_lt_u64_e64 s23, s[18:19], 3
	s_mul_hi_u32 s24, s10, s33
	s_mul_i32 s11, s11, s33
	s_add_i32 s22, s24, s22
	s_add_i32 s34, s22, s11
	s_and_b32 vcc_lo, exec_lo, s23
	s_mul_i32 s11, s10, s33
	s_cbranch_vccnz .LBB0_10
; %bb.3:
	s_add_u32 s22, s14, 16
	s_addc_u32 s23, s15, 0
	s_add_u32 s12, s12, 16
	s_addc_u32 s13, s13, 0
	s_mov_b64 s[24:25], 2
	s_mov_b32 s26, 0
.LBB0_4:                                ; =>This Inner Loop Header: Depth=1
	s_load_dwordx2 s[28:29], s[12:13], 0x0
	s_waitcnt lgkmcnt(0)
	s_or_b64 s[30:31], s[20:21], s[28:29]
	s_mov_b32 s27, s31
                                        ; implicit-def: $sgpr30_sgpr31
	s_cmp_lg_u64 s[26:27], 0
	s_mov_b32 s27, -1
	s_cbranch_scc0 .LBB0_6
; %bb.5:                                ;   in Loop: Header=BB0_4 Depth=1
	v_cvt_f32_u32_e32 v1, s28
	v_cvt_f32_u32_e32 v2, s29
	s_sub_u32 s31, 0, s28
	s_subb_u32 s35, 0, s29
	v_fmac_f32_e32 v1, 0x4f800000, v2
	v_rcp_f32_e32 v1, v1
	v_mul_f32_e32 v1, 0x5f7ffffc, v1
	v_mul_f32_e32 v2, 0x2f800000, v1
	v_trunc_f32_e32 v2, v2
	v_fmac_f32_e32 v1, 0xcf800000, v2
	v_cvt_u32_f32_e32 v2, v2
	v_cvt_u32_f32_e32 v1, v1
	v_readfirstlane_b32 s27, v2
	v_readfirstlane_b32 s30, v1
	s_mul_i32 s36, s31, s27
	s_mul_hi_u32 s38, s31, s30
	s_mul_i32 s37, s35, s30
	s_add_i32 s36, s38, s36
	s_mul_i32 s39, s31, s30
	s_add_i32 s36, s36, s37
	s_mul_hi_u32 s38, s30, s39
	s_mul_hi_u32 s40, s27, s39
	s_mul_i32 s37, s27, s39
	s_mul_hi_u32 s39, s30, s36
	s_mul_i32 s30, s30, s36
	s_mul_hi_u32 s41, s27, s36
	s_add_u32 s30, s38, s30
	s_addc_u32 s38, 0, s39
	s_add_u32 s30, s30, s37
	s_mul_i32 s36, s27, s36
	s_addc_u32 s30, s38, s40
	s_addc_u32 s37, s41, 0
	s_add_u32 s30, s30, s36
	s_addc_u32 s36, 0, s37
	v_add_co_u32 v1, s30, v1, s30
	s_cmp_lg_u32 s30, 0
	s_addc_u32 s27, s27, s36
	v_readfirstlane_b32 s30, v1
	s_mul_i32 s36, s31, s27
	s_mul_hi_u32 s37, s31, s30
	s_mul_i32 s35, s35, s30
	s_add_i32 s36, s37, s36
	s_mul_i32 s31, s31, s30
	s_add_i32 s36, s36, s35
	s_mul_hi_u32 s37, s27, s31
	s_mul_i32 s38, s27, s31
	s_mul_hi_u32 s31, s30, s31
	s_mul_hi_u32 s39, s30, s36
	s_mul_i32 s30, s30, s36
	s_mul_hi_u32 s35, s27, s36
	s_add_u32 s30, s31, s30
	s_addc_u32 s31, 0, s39
	s_add_u32 s30, s30, s38
	s_mul_i32 s36, s27, s36
	s_addc_u32 s30, s31, s37
	s_addc_u32 s31, s35, 0
	s_add_u32 s30, s30, s36
	s_addc_u32 s31, 0, s31
	v_add_co_u32 v1, s30, v1, s30
	s_cmp_lg_u32 s30, 0
	s_addc_u32 s27, s27, s31
	v_readfirstlane_b32 s30, v1
	s_mul_i32 s35, s20, s27
	s_mul_hi_u32 s31, s20, s27
	s_mul_hi_u32 s36, s21, s27
	s_mul_i32 s27, s21, s27
	s_mul_hi_u32 s37, s20, s30
	s_mul_hi_u32 s38, s21, s30
	s_mul_i32 s30, s21, s30
	s_add_u32 s35, s37, s35
	s_addc_u32 s31, 0, s31
	s_add_u32 s30, s35, s30
	s_addc_u32 s30, s31, s38
	s_addc_u32 s31, s36, 0
	s_add_u32 s30, s30, s27
	s_addc_u32 s31, 0, s31
	s_mul_hi_u32 s27, s28, s30
	s_mul_i32 s36, s28, s31
	s_mul_i32 s37, s28, s30
	s_add_i32 s27, s27, s36
	v_sub_co_u32 v1, s36, s20, s37
	s_mul_i32 s35, s29, s30
	s_add_i32 s27, s27, s35
	v_sub_co_u32 v2, s37, v1, s28
	s_sub_i32 s35, s21, s27
	s_cmp_lg_u32 s36, 0
	s_subb_u32 s35, s35, s29
	s_cmp_lg_u32 s37, 0
	v_readfirstlane_b32 s37, v2
	s_subb_u32 s35, s35, 0
	s_cmp_ge_u32 s35, s29
	s_cselect_b32 s38, -1, 0
	s_cmp_ge_u32 s37, s28
	s_cselect_b32 s37, -1, 0
	s_cmp_eq_u32 s35, s29
	s_cselect_b32 s35, s37, s38
	s_add_u32 s37, s30, 1
	s_addc_u32 s38, s31, 0
	s_add_u32 s39, s30, 2
	s_addc_u32 s40, s31, 0
	s_cmp_lg_u32 s35, 0
	s_cselect_b32 s35, s39, s37
	s_cselect_b32 s37, s40, s38
	s_cmp_lg_u32 s36, 0
	v_readfirstlane_b32 s36, v1
	s_subb_u32 s27, s21, s27
	s_cmp_ge_u32 s27, s29
	s_cselect_b32 s38, -1, 0
	s_cmp_ge_u32 s36, s28
	s_cselect_b32 s36, -1, 0
	s_cmp_eq_u32 s27, s29
	s_cselect_b32 s27, s36, s38
	s_cmp_lg_u32 s27, 0
	s_mov_b32 s27, 0
	s_cselect_b32 s31, s37, s31
	s_cselect_b32 s30, s35, s30
.LBB0_6:                                ;   in Loop: Header=BB0_4 Depth=1
	s_andn2_b32 vcc_lo, exec_lo, s27
	s_cbranch_vccnz .LBB0_8
; %bb.7:                                ;   in Loop: Header=BB0_4 Depth=1
	v_cvt_f32_u32_e32 v1, s28
	s_sub_i32 s30, 0, s28
	v_rcp_iflag_f32_e32 v1, v1
	v_mul_f32_e32 v1, 0x4f7ffffe, v1
	v_cvt_u32_f32_e32 v1, v1
	v_readfirstlane_b32 s27, v1
	s_mul_i32 s30, s30, s27
	s_mul_hi_u32 s30, s27, s30
	s_add_i32 s27, s27, s30
	s_mul_hi_u32 s27, s20, s27
	s_mul_i32 s30, s27, s28
	s_add_i32 s31, s27, 1
	s_sub_i32 s30, s20, s30
	s_sub_i32 s35, s30, s28
	s_cmp_ge_u32 s30, s28
	s_cselect_b32 s27, s31, s27
	s_cselect_b32 s30, s35, s30
	s_add_i32 s31, s27, 1
	s_cmp_ge_u32 s30, s28
	s_cselect_b32 s30, s31, s27
	s_mov_b32 s31, s26
.LBB0_8:                                ;   in Loop: Header=BB0_4 Depth=1
	s_load_dwordx2 s[36:37], s[22:23], 0x0
	s_mul_i32 s17, s28, s17
	s_mul_hi_u32 s27, s28, s16
	s_mul_i32 s35, s29, s16
	s_mul_i32 s29, s30, s29
	s_mul_hi_u32 s38, s30, s28
	s_mul_i32 s39, s31, s28
	s_add_i32 s17, s27, s17
	s_add_i32 s27, s38, s29
	s_mul_i32 s40, s30, s28
	s_add_i32 s17, s17, s35
	s_add_i32 s27, s27, s39
	s_sub_u32 s20, s20, s40
	s_subb_u32 s21, s21, s27
	s_mul_i32 s16, s28, s16
	s_waitcnt lgkmcnt(0)
	s_mul_i32 s21, s36, s21
	s_mul_hi_u32 s27, s36, s20
	s_add_i32 s21, s27, s21
	s_mul_i32 s27, s37, s20
	s_mul_i32 s20, s36, s20
	s_add_i32 s21, s21, s27
	s_add_u32 s11, s20, s11
	s_addc_u32 s34, s21, s34
	s_add_u32 s24, s24, 1
	s_addc_u32 s25, s25, 0
	s_add_u32 s22, s22, 8
	v_cmp_ge_u64_e64 s20, s[24:25], s[18:19]
	s_addc_u32 s23, s23, 0
	s_add_u32 s12, s12, 8
	s_addc_u32 s13, s13, 0
	s_and_b32 vcc_lo, exec_lo, s20
	s_cbranch_vccnz .LBB0_11
; %bb.9:                                ;   in Loop: Header=BB0_4 Depth=1
	s_mov_b64 s[20:21], s[30:31]
	s_branch .LBB0_4
.LBB0_10:
	v_mov_b32_e32 v1, s20
	v_mov_b32_e32 v2, s21
	s_branch .LBB0_13
.LBB0_11:
	v_cmp_lt_u64_e64 s7, s[6:7], s[16:17]
	v_mov_b32_e32 v1, 0
	v_mov_b32_e32 v2, 0
	s_and_b32 vcc_lo, exec_lo, s7
	s_cbranch_vccnz .LBB0_13
; %bb.12:
	v_cvt_f32_u32_e32 v1, s16
	s_sub_i32 s7, 0, s16
	v_rcp_iflag_f32_e32 v1, v1
	v_mul_f32_e32 v1, 0x4f7ffffe, v1
	v_cvt_u32_f32_e32 v1, v1
	v_mul_lo_u32 v2, s7, v1
	v_mul_hi_u32 v2, v1, v2
	v_add_nc_u32_e32 v1, v1, v2
	v_mul_hi_u32 v1, s6, v1
	v_mul_lo_u32 v2, v1, s16
	v_add_nc_u32_e32 v3, 1, v1
	v_sub_nc_u32_e32 v2, s6, v2
	v_subrev_nc_u32_e32 v4, s16, v2
	v_cmp_le_u32_e32 vcc_lo, s16, v2
	v_cndmask_b32_e32 v2, v2, v4, vcc_lo
	v_cndmask_b32_e32 v1, v1, v3, vcc_lo
	v_cmp_le_u32_e32 vcc_lo, s16, v2
	v_add_nc_u32_e32 v3, 1, v1
	v_cndmask_b32_e32 v1, v1, v3, vcc_lo
.LBB0_13:
	s_lshl_b64 s[6:7], s[18:19], 3
	v_mul_u32_u24_e32 v2, 0x5556, v0
	s_add_u32 s6, s14, s6
	s_addc_u32 s7, s15, s7
	v_mul_u32_u24_e32 v13, 0x1c72, v0
	s_load_dword s7, s[6:7], 0x0
	v_lshrrev_b32_e32 v5, 16, v2
	s_add_u32 s6, s33, 3
	v_mov_b32_e32 v14, 12
	v_lshrrev_b32_e32 v13, 16, v13
	v_mul_lo_u16 v2, v5, 3
	v_add_nc_u32_e32 v3, 0x51, v5
	v_add_nc_u32_e32 v7, 0xa2, v5
	v_mul_lo_u32 v6, s8, v5
	v_mul_u32_u24_e32 v10, 36, v5
	v_sub_nc_u16 v2, v0, v2
	v_mul_lo_u32 v3, s8, v3
	v_mul_lo_u32 v7, s8, v7
	v_mul_u32_u24_e32 v12, 0x1c72, v5
	v_and_b32_e32 v4, 0xffff, v2
	v_lshrrev_b32_e32 v12, 16, v12
	s_waitcnt lgkmcnt(0)
	v_mul_lo_u32 v8, s7, v1
	v_add_co_u32 v1, s7, s33, v4
	v_mul_lo_u32 v9, s10, v4
	v_add_co_ci_u32_e64 v2, null, s9, 0, s7
	s_addc_u32 s7, s9, 0
	v_lshlrev_b32_e32 v11, 2, v4
	v_add_nc_u32_e32 v8, s11, v8
	v_cmp_le_u64_e64 s6, s[6:7], s[2:3]
	v_cmp_gt_u64_e32 vcc_lo, s[2:3], v[1:2]
	v_add_lshl_u32 v2, v9, v3, 2
	v_add_lshl_u32 v1, v9, v6, 2
	v_lshlrev_b32_e32 v3, 2, v8
	v_add_lshl_u32 v6, v9, v7, 2
	s_mov_b32 s3, 0x31014000
	s_or_b32 vcc_lo, s6, vcc_lo
	s_mov_b32 s2, -2
	v_cndmask_b32_e32 v2, -1, v2, vcc_lo
	v_readfirstlane_b32 s6, v3
	v_cndmask_b32_e32 v3, -1, v6, vcc_lo
	v_cndmask_b32_e32 v1, -1, v1, vcc_lo
	v_mul_u32_u24_e32 v6, 0x5556, v5
	s_clause 0x2
	buffer_load_dword v2, v2, s[0:3], s6 offen
	buffer_load_dword v3, v3, s[0:3], s6 offen
	;; [unrolled: 1-line block ×3, first 2 shown]
	v_mul_lo_u16 v12, v12, 9
	v_lshrrev_b32_e32 v6, 16, v6
	v_sub_nc_u16 v12, v5, v12
	v_mul_lo_u16 v6, v6, 3
	v_sub_nc_u16 v6, v5, v6
	s_waitcnt vmcnt(1)
	v_pk_add_f16 v7, v2, v3
	v_pk_add_f16 v8, v2, v3 neg_lo:[0,1] neg_hi:[0,1]
	s_waitcnt vmcnt(0)
	v_pk_fma_f16 v7, v7, -0.5, v1 op_sel_hi:[1,0,1]
	v_pk_mul_f16 v8, 0x3aee, v8 op_sel_hi:[0,1]
	v_pk_add_f16 v1, v1, v2
	v_pk_add_f16 v2, v7, v8 op_sel:[0,1] op_sel_hi:[1,0]
	v_pk_add_f16 v4, v7, v8 op_sel:[0,1] op_sel_hi:[1,0] neg_lo:[0,1] neg_hi:[0,1]
	v_mov_b32_e32 v7, 2
	v_add3_u32 v8, 0, v10, v11
	v_lshlrev_b16 v10, 1, v6
	v_pk_add_f16 v1, v1, v3
	v_bfi_b32 v3, 0xffff, v2, v4
	v_bfi_b32 v2, 0xffff, v4, v2
	ds_write2_b32 v8, v1, v3 offset1:3
	ds_write_b32 v8, v2 offset:24
	v_lshlrev_b32_sdwa v4, v7, v10 dst_sel:DWORD dst_unused:UNUSED_PAD src0_sel:DWORD src1_sel:WORD_0
	s_waitcnt lgkmcnt(0)
	s_barrier
	buffer_gl0_inv
	v_mad_i32_i24 v8, 0xffffffe8, v5, v8
	global_load_dwordx2 v[1:2], v4, s[4:5]
	ds_read_b32 v10, v8 offset:1944
	ds_read2_b32 v[3:4], v8 offset1:243
	v_mad_u16 v6, v13, 9, v6
	s_waitcnt vmcnt(0) lgkmcnt(0)
	s_barrier
	buffer_gl0_inv
	v_mul_u32_u24_sdwa v6, v6, v14 dst_sel:DWORD dst_unused:UNUSED_PAD src0_sel:WORD_0 src1_sel:DWORD
	v_add3_u32 v6, 0, v6, v11
	v_lshrrev_b32_e32 v15, 16, v10
	v_lshrrev_b32_e32 v16, 16, v1
	v_mul_f16_sdwa v17, v1, v4 dst_sel:DWORD dst_unused:UNUSED_PAD src0_sel:DWORD src1_sel:WORD_1
	v_mul_f16_sdwa v18, v2, v10 dst_sel:DWORD dst_unused:UNUSED_PAD src0_sel:WORD_1 src1_sel:DWORD
	v_mul_f16_sdwa v13, v2, v15 dst_sel:DWORD dst_unused:UNUSED_PAD src0_sel:WORD_1 src1_sel:DWORD
	v_mul_f16_sdwa v19, v16, v4 dst_sel:DWORD dst_unused:UNUSED_PAD src0_sel:DWORD src1_sel:WORD_1
	v_fmac_f16_e32 v17, v16, v4
	v_fmac_f16_e32 v18, v2, v15
	v_fma_f16 v2, v2, v10, -v13
	v_lshrrev_b32_e32 v15, 16, v3
	v_fma_f16 v1, v1, v4, -v19
	v_lshlrev_b16 v4, 1, v12
	v_add_f16_e32 v10, v17, v18
	v_add_f16_e32 v13, v17, v15
	v_add_f16_e32 v16, v1, v2
	v_add_f16_e32 v19, v1, v3
	v_fmac_f16_e32 v15, -0.5, v10
	v_sub_f16_e32 v1, v1, v2
	v_sub_f16_e32 v10, v17, v18
	v_fma_f16 v3, -0.5, v16, v3
	v_add_f16_e32 v13, v13, v18
	v_add_f16_e32 v2, v19, v2
	v_fmamk_f16 v16, v1, 0xbaee, v15
	v_fmac_f16_e32 v15, 0x3aee, v1
	v_fmamk_f16 v1, v10, 0x3aee, v3
	v_fmac_f16_e32 v3, 0xbaee, v10
	v_lshlrev_b32_sdwa v4, v7, v4 dst_sel:DWORD dst_unused:UNUSED_PAD src0_sel:DWORD src1_sel:WORD_0
	v_pack_b32_f16 v2, v2, v13
	v_mul_u32_u24_e32 v13, 0x97c, v0
	v_pack_b32_f16 v1, v1, v16
	v_pack_b32_f16 v3, v3, v15
	ds_write2_b32 v6, v2, v1 offset1:9
	ds_write_b32 v6, v3 offset:72
	s_waitcnt lgkmcnt(0)
	s_barrier
	buffer_gl0_inv
	global_load_dwordx2 v[1:2], v4, s[4:5] offset:24
	ds_read_b32 v6, v8 offset:1944
	ds_read2_b32 v[3:4], v8 offset1:243
	v_lshrrev_b32_e32 v13, 16, v13
	v_mul_u32_u24_e32 v10, 0x97c, v5
	s_waitcnt vmcnt(0) lgkmcnt(0)
	s_barrier
	buffer_gl0_inv
	v_mad_u16 v12, v13, 27, v12
	v_lshrrev_b32_e32 v10, 16, v10
	v_mul_u32_u24_sdwa v12, v12, v14 dst_sel:DWORD dst_unused:UNUSED_PAD src0_sel:WORD_0 src1_sel:DWORD
	v_mul_lo_u16 v10, v10, 27
	v_sub_nc_u16 v10, v5, v10
	v_lshrrev_b32_e32 v15, 16, v6
	v_lshrrev_b32_e32 v16, 16, v1
	v_mul_f16_sdwa v17, v1, v4 dst_sel:DWORD dst_unused:UNUSED_PAD src0_sel:DWORD src1_sel:WORD_1
	v_mul_f16_sdwa v18, v2, v6 dst_sel:DWORD dst_unused:UNUSED_PAD src0_sel:WORD_1 src1_sel:DWORD
	v_mul_f16_sdwa v13, v2, v15 dst_sel:DWORD dst_unused:UNUSED_PAD src0_sel:WORD_1 src1_sel:DWORD
	v_mul_f16_sdwa v19, v16, v4 dst_sel:DWORD dst_unused:UNUSED_PAD src0_sel:DWORD src1_sel:WORD_1
	v_fmac_f16_e32 v17, v16, v4
	v_fmac_f16_e32 v18, v2, v15
	v_fma_f16 v2, v2, v6, -v13
	v_lshrrev_b32_e32 v15, 16, v3
	v_fma_f16 v1, v1, v4, -v19
	v_lshlrev_b16 v4, 1, v10
	v_add_f16_e32 v6, v17, v18
	v_add_f16_e32 v13, v17, v15
	;; [unrolled: 1-line block ×4, first 2 shown]
	v_fmac_f16_e32 v15, -0.5, v6
	v_sub_f16_e32 v1, v1, v2
	v_sub_f16_e32 v6, v17, v18
	v_fma_f16 v3, -0.5, v16, v3
	v_add_f16_e32 v13, v13, v18
	v_add_f16_e32 v2, v19, v2
	v_fmamk_f16 v16, v1, 0xbaee, v15
	v_fmac_f16_e32 v15, 0x3aee, v1
	v_fmamk_f16 v1, v6, 0x3aee, v3
	v_fmac_f16_e32 v3, 0xbaee, v6
	v_lshlrev_b32_sdwa v4, v7, v4 dst_sel:DWORD dst_unused:UNUSED_PAD src0_sel:DWORD src1_sel:WORD_0
	v_add3_u32 v6, 0, v12, v11
	v_pack_b32_f16 v2, v2, v13
	v_pack_b32_f16 v1, v1, v16
	;; [unrolled: 1-line block ×3, first 2 shown]
	ds_write2_b32 v6, v2, v1 offset1:27
	ds_write_b32 v6, v3 offset:216
	s_waitcnt lgkmcnt(0)
	s_barrier
	buffer_gl0_inv
	global_load_dwordx2 v[1:2], v4, s[4:5] offset:96
	ds_read_b32 v6, v8 offset:1944
	ds_read2_b32 v[3:4], v8 offset1:243
	v_mul_u32_u24_e32 v12, 0x32a, v0
	v_mul_u32_u24_e32 v7, 0x32a, v5
	v_mov_b32_e32 v13, 3
	s_waitcnt vmcnt(0) lgkmcnt(0)
	s_barrier
	v_lshrrev_b32_e32 v12, 16, v12
	v_lshrrev_b32_e32 v7, 16, v7
	buffer_gl0_inv
	v_mad_u16 v10, 0x51, v12, v10
	v_mul_lo_u16 v7, 0x51, v7
	v_sub_nc_u16 v5, v5, v7
	v_lshrrev_b32_e32 v15, 16, v6
	v_lshrrev_b32_e32 v16, 16, v1
	v_mul_f16_sdwa v17, v1, v4 dst_sel:DWORD dst_unused:UNUSED_PAD src0_sel:DWORD src1_sel:WORD_1
	v_mul_f16_sdwa v18, v2, v6 dst_sel:DWORD dst_unused:UNUSED_PAD src0_sel:WORD_1 src1_sel:DWORD
	v_mul_f16_sdwa v12, v2, v15 dst_sel:DWORD dst_unused:UNUSED_PAD src0_sel:WORD_1 src1_sel:DWORD
	v_mul_f16_sdwa v19, v16, v4 dst_sel:DWORD dst_unused:UNUSED_PAD src0_sel:DWORD src1_sel:WORD_1
	v_fmac_f16_e32 v17, v16, v4
	v_fmac_f16_e32 v18, v2, v15
	v_fma_f16 v2, v2, v6, -v12
	v_lshrrev_b32_e32 v15, 16, v3
	v_fma_f16 v1, v1, v4, -v19
	v_mul_u32_u24_sdwa v6, v10, v14 dst_sel:DWORD dst_unused:UNUSED_PAD src0_sel:WORD_0 src1_sel:DWORD
	v_add_f16_e32 v4, v17, v18
	v_add_f16_e32 v7, v17, v15
	;; [unrolled: 1-line block ×4, first 2 shown]
	v_fmac_f16_e32 v15, -0.5, v4
	v_sub_f16_e32 v1, v1, v2
	v_sub_f16_e32 v4, v17, v18
	v_fma_f16 v3, -0.5, v10, v3
	v_add_f16_e32 v7, v7, v18
	v_add_f16_e32 v2, v12, v2
	v_fmamk_f16 v10, v1, 0xbaee, v15
	v_fmac_f16_e32 v15, 0x3aee, v1
	v_fmamk_f16 v1, v4, 0x3aee, v3
	v_fmac_f16_e32 v3, 0xbaee, v4
	v_lshlrev_b32_sdwa v4, v13, v5 dst_sel:DWORD dst_unused:UNUSED_PAD src0_sel:DWORD src1_sel:WORD_0
	v_add3_u32 v6, 0, v6, v11
	v_pack_b32_f16 v2, v2, v7
	v_pack_b32_f16 v1, v1, v10
	;; [unrolled: 1-line block ×3, first 2 shown]
	ds_write2_b32 v6, v2, v1 offset1:81
	ds_write_b32 v6, v3 offset:648
	s_waitcnt lgkmcnt(0)
	s_barrier
	buffer_gl0_inv
	global_load_dwordx2 v[1:2], v4, s[4:5] offset:312
	v_mul_u32_u24_e32 v3, 0x10e, v0
	v_lshrrev_b32_e32 v3, 16, v3
	v_mul_lo_u16 v3, 0xf3, v3
	v_sub_nc_u16 v6, v0, v3
	ds_read_b32 v7, v8 offset:1944
	ds_read2_b32 v[3:4], v8 offset1:243
	v_sub_nc_u32_sdwa v0, v0, v6 dst_sel:DWORD dst_unused:UNUSED_PAD src0_sel:DWORD src1_sel:WORD_0
	v_add_nc_u32_sdwa v0, v0, v5 dst_sel:DWORD dst_unused:UNUSED_PAD src0_sel:DWORD src1_sel:WORD_0
	v_add_nc_u32_e32 v5, 0x51, v0
	v_add_nc_u32_e32 v6, 0xa2, v0
	v_mul_lo_u32 v0, s8, v0
	s_waitcnt lgkmcnt(1)
	v_lshrrev_b32_e32 v8, 16, v7
	v_mul_lo_u32 v5, s8, v5
	v_mul_lo_u32 v6, s8, v6
	v_add_lshl_u32 v0, v9, v0, 2
	v_add_lshl_u32 v5, v9, v5, 2
	;; [unrolled: 1-line block ×3, first 2 shown]
	v_cndmask_b32_e32 v0, -1, v0, vcc_lo
	v_cndmask_b32_e32 v5, -1, v5, vcc_lo
	;; [unrolled: 1-line block ×3, first 2 shown]
	s_waitcnt vmcnt(0)
	v_lshrrev_b32_e32 v10, 16, v1
	s_waitcnt lgkmcnt(0)
	v_mul_f16_sdwa v11, v1, v4 dst_sel:DWORD dst_unused:UNUSED_PAD src0_sel:DWORD src1_sel:WORD_1
	v_mul_f16_sdwa v12, v2, v7 dst_sel:DWORD dst_unused:UNUSED_PAD src0_sel:WORD_1 src1_sel:DWORD
	v_mul_f16_sdwa v13, v2, v8 dst_sel:DWORD dst_unused:UNUSED_PAD src0_sel:WORD_1 src1_sel:DWORD
	v_mul_f16_sdwa v14, v10, v4 dst_sel:DWORD dst_unused:UNUSED_PAD src0_sel:DWORD src1_sel:WORD_1
	v_fmac_f16_e32 v11, v10, v4
	v_fmac_f16_e32 v12, v2, v8
	v_lshrrev_b32_e32 v8, 16, v3
	v_fma_f16 v2, v2, v7, -v13
	v_fma_f16 v1, v1, v4, -v14
	v_add_f16_e32 v4, v11, v12
	v_add_f16_e32 v7, v11, v8
	v_sub_f16_e32 v10, v11, v12
	v_add_f16_e32 v9, v1, v2
	v_fmac_f16_e32 v8, -0.5, v4
	v_sub_f16_e32 v4, v1, v2
	v_add_f16_e32 v1, v1, v3
	v_fma_f16 v3, -0.5, v9, v3
	v_add_f16_sdwa v7, v7, v12 dst_sel:WORD_1 dst_unused:UNUSED_PAD src0_sel:DWORD src1_sel:DWORD
	v_fmamk_f16 v9, v4, 0xbaee, v8
	v_fmac_f16_e32 v8, 0x3aee, v4
	v_add_f16_e32 v1, v1, v2
	v_fmamk_f16 v2, v10, 0x3aee, v3
	v_fmac_f16_e32 v3, 0xbaee, v10
	v_lshlrev_b32_e32 v4, 16, v9
	v_lshlrev_b32_e32 v8, 16, v8
	v_or_b32_sdwa v1, v7, v1 dst_sel:DWORD dst_unused:UNUSED_PAD src0_sel:DWORD src1_sel:WORD_0
	v_or_b32_sdwa v2, v4, v2 dst_sel:DWORD dst_unused:UNUSED_PAD src0_sel:DWORD src1_sel:WORD_0
	;; [unrolled: 1-line block ×3, first 2 shown]
	buffer_store_dword v1, v0, s[0:3], s6 offen
	buffer_store_dword v2, v5, s[0:3], s6 offen
	;; [unrolled: 1-line block ×3, first 2 shown]
	s_endpgm
	.section	.rodata,"a",@progbits
	.p2align	6, 0x0
	.amdhsa_kernel fft_rtc_fwd_len243_factors_3_3_3_3_3_wgs_243_tpt_81_half_ip_CI_sbcc_dirReg_intrinsicReadWrite
		.amdhsa_group_segment_fixed_size 0
		.amdhsa_private_segment_fixed_size 0
		.amdhsa_kernarg_size 96
		.amdhsa_user_sgpr_count 6
		.amdhsa_user_sgpr_private_segment_buffer 1
		.amdhsa_user_sgpr_dispatch_ptr 0
		.amdhsa_user_sgpr_queue_ptr 0
		.amdhsa_user_sgpr_kernarg_segment_ptr 1
		.amdhsa_user_sgpr_dispatch_id 0
		.amdhsa_user_sgpr_flat_scratch_init 0
		.amdhsa_user_sgpr_private_segment_size 0
		.amdhsa_wavefront_size32 1
		.amdhsa_uses_dynamic_stack 0
		.amdhsa_system_sgpr_private_segment_wavefront_offset 0
		.amdhsa_system_sgpr_workgroup_id_x 1
		.amdhsa_system_sgpr_workgroup_id_y 0
		.amdhsa_system_sgpr_workgroup_id_z 0
		.amdhsa_system_sgpr_workgroup_info 0
		.amdhsa_system_vgpr_workitem_id 0
		.amdhsa_next_free_vgpr 20
		.amdhsa_next_free_sgpr 42
		.amdhsa_reserve_vcc 1
		.amdhsa_reserve_flat_scratch 0
		.amdhsa_float_round_mode_32 0
		.amdhsa_float_round_mode_16_64 0
		.amdhsa_float_denorm_mode_32 3
		.amdhsa_float_denorm_mode_16_64 3
		.amdhsa_dx10_clamp 1
		.amdhsa_ieee_mode 1
		.amdhsa_fp16_overflow 0
		.amdhsa_workgroup_processor_mode 1
		.amdhsa_memory_ordered 1
		.amdhsa_forward_progress 0
		.amdhsa_shared_vgpr_count 0
		.amdhsa_exception_fp_ieee_invalid_op 0
		.amdhsa_exception_fp_denorm_src 0
		.amdhsa_exception_fp_ieee_div_zero 0
		.amdhsa_exception_fp_ieee_overflow 0
		.amdhsa_exception_fp_ieee_underflow 0
		.amdhsa_exception_fp_ieee_inexact 0
		.amdhsa_exception_int_div_zero 0
	.end_amdhsa_kernel
	.text
.Lfunc_end0:
	.size	fft_rtc_fwd_len243_factors_3_3_3_3_3_wgs_243_tpt_81_half_ip_CI_sbcc_dirReg_intrinsicReadWrite, .Lfunc_end0-fft_rtc_fwd_len243_factors_3_3_3_3_3_wgs_243_tpt_81_half_ip_CI_sbcc_dirReg_intrinsicReadWrite
                                        ; -- End function
	.section	.AMDGPU.csdata,"",@progbits
; Kernel info:
; codeLenInByte = 3292
; NumSgprs: 44
; NumVgprs: 20
; ScratchSize: 0
; MemoryBound: 0
; FloatMode: 240
; IeeeMode: 1
; LDSByteSize: 0 bytes/workgroup (compile time only)
; SGPRBlocks: 5
; VGPRBlocks: 2
; NumSGPRsForWavesPerEU: 44
; NumVGPRsForWavesPerEU: 20
; Occupancy: 16
; WaveLimiterHint : 0
; COMPUTE_PGM_RSRC2:SCRATCH_EN: 0
; COMPUTE_PGM_RSRC2:USER_SGPR: 6
; COMPUTE_PGM_RSRC2:TRAP_HANDLER: 0
; COMPUTE_PGM_RSRC2:TGID_X_EN: 1
; COMPUTE_PGM_RSRC2:TGID_Y_EN: 0
; COMPUTE_PGM_RSRC2:TGID_Z_EN: 0
; COMPUTE_PGM_RSRC2:TIDIG_COMP_CNT: 0
	.text
	.p2alignl 6, 3214868480
	.fill 48, 4, 3214868480
	.type	__hip_cuid_fffffa4ec48e1487,@object ; @__hip_cuid_fffffa4ec48e1487
	.section	.bss,"aw",@nobits
	.globl	__hip_cuid_fffffa4ec48e1487
__hip_cuid_fffffa4ec48e1487:
	.byte	0                               ; 0x0
	.size	__hip_cuid_fffffa4ec48e1487, 1

	.ident	"AMD clang version 19.0.0git (https://github.com/RadeonOpenCompute/llvm-project roc-6.4.0 25133 c7fe45cf4b819c5991fe208aaa96edf142730f1d)"
	.section	".note.GNU-stack","",@progbits
	.addrsig
	.addrsig_sym __hip_cuid_fffffa4ec48e1487
	.amdgpu_metadata
---
amdhsa.kernels:
  - .args:
      - .actual_access:  read_only
        .address_space:  global
        .offset:         0
        .size:           8
        .value_kind:     global_buffer
      - .address_space:  global
        .offset:         8
        .size:           8
        .value_kind:     global_buffer
      - .offset:         16
        .size:           8
        .value_kind:     by_value
      - .actual_access:  read_only
        .address_space:  global
        .offset:         24
        .size:           8
        .value_kind:     global_buffer
      - .actual_access:  read_only
        .address_space:  global
        .offset:         32
        .size:           8
        .value_kind:     global_buffer
      - .offset:         40
        .size:           8
        .value_kind:     by_value
      - .actual_access:  read_only
        .address_space:  global
        .offset:         48
        .size:           8
        .value_kind:     global_buffer
      - .actual_access:  read_only
        .address_space:  global
        .offset:         56
        .size:           8
        .value_kind:     global_buffer
      - .offset:         64
        .size:           4
        .value_kind:     by_value
      - .actual_access:  read_only
        .address_space:  global
        .offset:         72
        .size:           8
        .value_kind:     global_buffer
      - .actual_access:  read_only
        .address_space:  global
        .offset:         80
        .size:           8
        .value_kind:     global_buffer
      - .address_space:  global
        .offset:         88
        .size:           8
        .value_kind:     global_buffer
    .group_segment_fixed_size: 0
    .kernarg_segment_align: 8
    .kernarg_segment_size: 96
    .language:       OpenCL C
    .language_version:
      - 2
      - 0
    .max_flat_workgroup_size: 243
    .name:           fft_rtc_fwd_len243_factors_3_3_3_3_3_wgs_243_tpt_81_half_ip_CI_sbcc_dirReg_intrinsicReadWrite
    .private_segment_fixed_size: 0
    .sgpr_count:     44
    .sgpr_spill_count: 0
    .symbol:         fft_rtc_fwd_len243_factors_3_3_3_3_3_wgs_243_tpt_81_half_ip_CI_sbcc_dirReg_intrinsicReadWrite.kd
    .uniform_work_group_size: 1
    .uses_dynamic_stack: false
    .vgpr_count:     20
    .vgpr_spill_count: 0
    .wavefront_size: 32
    .workgroup_processor_mode: 1
amdhsa.target:   amdgcn-amd-amdhsa--gfx1030
amdhsa.version:
  - 1
  - 2
...

	.end_amdgpu_metadata
